;; amdgpu-corpus repo=ROCm/rocFFT kind=compiled arch=gfx906 opt=O3
	.text
	.amdgcn_target "amdgcn-amd-amdhsa--gfx906"
	.amdhsa_code_object_version 6
	.protected	fft_rtc_back_len936_factors_2_2_13_2_3_3_wgs_234_tpt_78_halfLds_sp_ip_CI_unitstride_sbrr_C2R_dirReg ; -- Begin function fft_rtc_back_len936_factors_2_2_13_2_3_3_wgs_234_tpt_78_halfLds_sp_ip_CI_unitstride_sbrr_C2R_dirReg
	.globl	fft_rtc_back_len936_factors_2_2_13_2_3_3_wgs_234_tpt_78_halfLds_sp_ip_CI_unitstride_sbrr_C2R_dirReg
	.p2align	8
	.type	fft_rtc_back_len936_factors_2_2_13_2_3_3_wgs_234_tpt_78_halfLds_sp_ip_CI_unitstride_sbrr_C2R_dirReg,@function
fft_rtc_back_len936_factors_2_2_13_2_3_3_wgs_234_tpt_78_halfLds_sp_ip_CI_unitstride_sbrr_C2R_dirReg: ; @fft_rtc_back_len936_factors_2_2_13_2_3_3_wgs_234_tpt_78_halfLds_sp_ip_CI_unitstride_sbrr_C2R_dirReg
; %bb.0:
	s_load_dwordx2 s[2:3], s[4:5], 0x50
	s_load_dwordx4 s[8:11], s[4:5], 0x0
	s_load_dwordx2 s[12:13], s[4:5], 0x18
	v_mul_u32_u24_e32 v1, 0x349, v0
	v_lshrrev_b32_e32 v1, 16, v1
	v_mad_u64_u32 v[1:2], s[0:1], s6, 3, v[1:2]
	v_mov_b32_e32 v5, 0
	s_waitcnt lgkmcnt(0)
	v_cmp_lt_u64_e64 s[0:1], s[10:11], 2
	v_mov_b32_e32 v2, v5
	v_mov_b32_e32 v3, 0
	;; [unrolled: 1-line block ×3, first 2 shown]
	s_and_b64 vcc, exec, s[0:1]
	v_mov_b32_e32 v4, 0
	v_mov_b32_e32 v9, v1
	s_cbranch_vccnz .LBB0_8
; %bb.1:
	s_load_dwordx2 s[0:1], s[4:5], 0x10
	s_add_u32 s6, s12, 8
	s_addc_u32 s7, s13, 0
	v_mov_b32_e32 v3, 0
	v_mov_b32_e32 v8, v2
	s_waitcnt lgkmcnt(0)
	s_add_u32 s16, s0, 8
	s_mov_b64 s[14:15], 1
	v_mov_b32_e32 v4, 0
	s_addc_u32 s17, s1, 0
	v_mov_b32_e32 v7, v1
.LBB0_2:                                ; =>This Inner Loop Header: Depth=1
	s_load_dwordx2 s[18:19], s[16:17], 0x0
                                        ; implicit-def: $vgpr9_vgpr10
	s_waitcnt lgkmcnt(0)
	v_or_b32_e32 v6, s19, v8
	v_cmp_ne_u64_e32 vcc, 0, v[5:6]
	s_and_saveexec_b64 s[0:1], vcc
	s_xor_b64 s[20:21], exec, s[0:1]
	s_cbranch_execz .LBB0_4
; %bb.3:                                ;   in Loop: Header=BB0_2 Depth=1
	v_cvt_f32_u32_e32 v2, s18
	v_cvt_f32_u32_e32 v6, s19
	s_sub_u32 s0, 0, s18
	s_subb_u32 s1, 0, s19
	v_mac_f32_e32 v2, 0x4f800000, v6
	v_rcp_f32_e32 v2, v2
	v_mul_f32_e32 v2, 0x5f7ffffc, v2
	v_mul_f32_e32 v6, 0x2f800000, v2
	v_trunc_f32_e32 v6, v6
	v_mac_f32_e32 v2, 0xcf800000, v6
	v_cvt_u32_f32_e32 v6, v6
	v_cvt_u32_f32_e32 v2, v2
	v_mul_lo_u32 v9, s0, v6
	v_mul_hi_u32 v10, s0, v2
	v_mul_lo_u32 v12, s1, v2
	v_mul_lo_u32 v11, s0, v2
	v_add_u32_e32 v9, v10, v9
	v_add_u32_e32 v9, v9, v12
	v_mul_hi_u32 v10, v2, v11
	v_mul_lo_u32 v12, v2, v9
	v_mul_hi_u32 v14, v2, v9
	v_mul_hi_u32 v13, v6, v11
	v_mul_lo_u32 v11, v6, v11
	v_mul_hi_u32 v15, v6, v9
	v_add_co_u32_e32 v10, vcc, v10, v12
	v_addc_co_u32_e32 v12, vcc, 0, v14, vcc
	v_mul_lo_u32 v9, v6, v9
	v_add_co_u32_e32 v10, vcc, v10, v11
	v_addc_co_u32_e32 v10, vcc, v12, v13, vcc
	v_addc_co_u32_e32 v11, vcc, 0, v15, vcc
	v_add_co_u32_e32 v9, vcc, v10, v9
	v_addc_co_u32_e32 v10, vcc, 0, v11, vcc
	v_add_co_u32_e32 v2, vcc, v2, v9
	v_addc_co_u32_e32 v6, vcc, v6, v10, vcc
	v_mul_lo_u32 v9, s0, v6
	v_mul_hi_u32 v10, s0, v2
	v_mul_lo_u32 v11, s1, v2
	v_mul_lo_u32 v12, s0, v2
	v_add_u32_e32 v9, v10, v9
	v_add_u32_e32 v9, v9, v11
	v_mul_lo_u32 v13, v2, v9
	v_mul_hi_u32 v14, v2, v12
	v_mul_hi_u32 v15, v2, v9
	;; [unrolled: 1-line block ×3, first 2 shown]
	v_mul_lo_u32 v12, v6, v12
	v_mul_hi_u32 v10, v6, v9
	v_add_co_u32_e32 v13, vcc, v14, v13
	v_addc_co_u32_e32 v14, vcc, 0, v15, vcc
	v_mul_lo_u32 v9, v6, v9
	v_add_co_u32_e32 v12, vcc, v13, v12
	v_addc_co_u32_e32 v11, vcc, v14, v11, vcc
	v_addc_co_u32_e32 v10, vcc, 0, v10, vcc
	v_add_co_u32_e32 v9, vcc, v11, v9
	v_addc_co_u32_e32 v10, vcc, 0, v10, vcc
	v_add_co_u32_e32 v2, vcc, v2, v9
	v_addc_co_u32_e32 v6, vcc, v6, v10, vcc
	v_mad_u64_u32 v[9:10], s[0:1], v7, v6, 0
	v_mul_hi_u32 v11, v7, v2
	v_add_co_u32_e32 v13, vcc, v11, v9
	v_addc_co_u32_e32 v14, vcc, 0, v10, vcc
	v_mad_u64_u32 v[9:10], s[0:1], v8, v2, 0
	v_mad_u64_u32 v[11:12], s[0:1], v8, v6, 0
	v_add_co_u32_e32 v2, vcc, v13, v9
	v_addc_co_u32_e32 v2, vcc, v14, v10, vcc
	v_addc_co_u32_e32 v6, vcc, 0, v12, vcc
	v_add_co_u32_e32 v2, vcc, v2, v11
	v_addc_co_u32_e32 v6, vcc, 0, v6, vcc
	v_mul_lo_u32 v11, s19, v2
	v_mul_lo_u32 v12, s18, v6
	v_mad_u64_u32 v[9:10], s[0:1], s18, v2, 0
	v_add3_u32 v10, v10, v12, v11
	v_sub_u32_e32 v11, v8, v10
	v_mov_b32_e32 v12, s19
	v_sub_co_u32_e32 v9, vcc, v7, v9
	v_subb_co_u32_e64 v11, s[0:1], v11, v12, vcc
	v_subrev_co_u32_e64 v12, s[0:1], s18, v9
	v_subbrev_co_u32_e64 v11, s[0:1], 0, v11, s[0:1]
	v_cmp_le_u32_e64 s[0:1], s19, v11
	v_cndmask_b32_e64 v13, 0, -1, s[0:1]
	v_cmp_le_u32_e64 s[0:1], s18, v12
	v_cndmask_b32_e64 v12, 0, -1, s[0:1]
	v_cmp_eq_u32_e64 s[0:1], s19, v11
	v_cndmask_b32_e64 v11, v13, v12, s[0:1]
	v_add_co_u32_e64 v12, s[0:1], 2, v2
	v_addc_co_u32_e64 v13, s[0:1], 0, v6, s[0:1]
	v_add_co_u32_e64 v14, s[0:1], 1, v2
	v_addc_co_u32_e64 v15, s[0:1], 0, v6, s[0:1]
	v_subb_co_u32_e32 v10, vcc, v8, v10, vcc
	v_cmp_ne_u32_e64 s[0:1], 0, v11
	v_cmp_le_u32_e32 vcc, s19, v10
	v_cndmask_b32_e64 v11, v15, v13, s[0:1]
	v_cndmask_b32_e64 v13, 0, -1, vcc
	v_cmp_le_u32_e32 vcc, s18, v9
	v_cndmask_b32_e64 v9, 0, -1, vcc
	v_cmp_eq_u32_e32 vcc, s19, v10
	v_cndmask_b32_e32 v9, v13, v9, vcc
	v_cmp_ne_u32_e32 vcc, 0, v9
	v_cndmask_b32_e32 v10, v6, v11, vcc
	v_cndmask_b32_e64 v6, v14, v12, s[0:1]
	v_cndmask_b32_e32 v9, v2, v6, vcc
.LBB0_4:                                ;   in Loop: Header=BB0_2 Depth=1
	s_andn2_saveexec_b64 s[0:1], s[20:21]
	s_cbranch_execz .LBB0_6
; %bb.5:                                ;   in Loop: Header=BB0_2 Depth=1
	v_cvt_f32_u32_e32 v2, s18
	s_sub_i32 s20, 0, s18
	v_rcp_iflag_f32_e32 v2, v2
	v_mul_f32_e32 v2, 0x4f7ffffe, v2
	v_cvt_u32_f32_e32 v2, v2
	v_mul_lo_u32 v6, s20, v2
	v_mul_hi_u32 v6, v2, v6
	v_add_u32_e32 v2, v2, v6
	v_mul_hi_u32 v2, v7, v2
	v_mul_lo_u32 v6, v2, s18
	v_add_u32_e32 v9, 1, v2
	v_sub_u32_e32 v6, v7, v6
	v_subrev_u32_e32 v10, s18, v6
	v_cmp_le_u32_e32 vcc, s18, v6
	v_cndmask_b32_e32 v6, v6, v10, vcc
	v_cndmask_b32_e32 v2, v2, v9, vcc
	v_add_u32_e32 v9, 1, v2
	v_cmp_le_u32_e32 vcc, s18, v6
	v_cndmask_b32_e32 v9, v2, v9, vcc
	v_mov_b32_e32 v10, v5
.LBB0_6:                                ;   in Loop: Header=BB0_2 Depth=1
	s_or_b64 exec, exec, s[0:1]
	v_mul_lo_u32 v2, v10, s18
	v_mul_lo_u32 v6, v9, s19
	v_mad_u64_u32 v[11:12], s[0:1], v9, s18, 0
	s_load_dwordx2 s[0:1], s[6:7], 0x0
	s_add_u32 s14, s14, 1
	v_add3_u32 v2, v12, v6, v2
	v_sub_co_u32_e32 v6, vcc, v7, v11
	v_subb_co_u32_e32 v2, vcc, v8, v2, vcc
	s_waitcnt lgkmcnt(0)
	v_mul_lo_u32 v2, s0, v2
	v_mul_lo_u32 v7, s1, v6
	v_mad_u64_u32 v[3:4], s[0:1], s0, v6, v[3:4]
	s_addc_u32 s15, s15, 0
	s_add_u32 s6, s6, 8
	v_add3_u32 v4, v7, v4, v2
	v_mov_b32_e32 v6, s10
	v_mov_b32_e32 v7, s11
	s_addc_u32 s7, s7, 0
	v_cmp_ge_u64_e32 vcc, s[14:15], v[6:7]
	s_add_u32 s16, s16, 8
	s_addc_u32 s17, s17, 0
	s_cbranch_vccnz .LBB0_8
; %bb.7:                                ;   in Loop: Header=BB0_2 Depth=1
	v_mov_b32_e32 v7, v9
	v_mov_b32_e32 v8, v10
	s_branch .LBB0_2
.LBB0_8:
	s_lshl_b64 s[0:1], s[10:11], 3
	s_add_u32 s0, s12, s0
	s_addc_u32 s1, s13, s1
	s_load_dwordx2 s[0:1], s[0:1], 0x0
	s_mov_b32 s6, 0xaaaaaaab
	v_mul_hi_u32 v5, v1, s6
	s_waitcnt lgkmcnt(0)
	v_mul_lo_u32 v6, s0, v10
	v_mul_lo_u32 v7, s1, v9
	v_mad_u64_u32 v[2:3], s[0:1], s0, v9, v[3:4]
	s_load_dwordx2 s[0:1], s[4:5], 0x20
	s_mov_b32 s4, 0x3483484
	v_lshrrev_b32_e32 v4, 1, v5
	v_mul_hi_u32 v5, v0, s4
	v_lshl_add_u32 v4, v4, 1, v4
	v_add3_u32 v3, v7, v3, v6
	v_sub_u32_e32 v1, v1, v4
	v_mul_u32_u24_e32 v1, 0x3a9, v1
	s_waitcnt lgkmcnt(0)
	v_cmp_gt_u64_e64 s[0:1], s[0:1], v[9:10]
	v_mul_u32_u24_e32 v4, 0x4e, v5
	v_lshlrev_b64 v[26:27], 3, v[2:3]
	v_sub_u32_e32 v24, v0, v4
	v_lshlrev_b32_e32 v35, 3, v1
	s_and_saveexec_b64 s[4:5], s[0:1]
	s_cbranch_execz .LBB0_12
; %bb.9:
	v_mov_b32_e32 v25, 0
	v_mov_b32_e32 v0, s3
	v_add_co_u32_e32 v2, vcc, s2, v26
	v_lshlrev_b64 v[3:4], 3, v[24:25]
	v_addc_co_u32_e32 v0, vcc, v0, v27, vcc
	v_add_co_u32_e32 v3, vcc, v2, v3
	v_addc_co_u32_e32 v4, vcc, v0, v4, vcc
	s_movk_i32 s6, 0x1000
	v_add_co_u32_e32 v5, vcc, s6, v3
	v_addc_co_u32_e32 v6, vcc, 0, v4, vcc
	global_load_dwordx2 v[7:8], v[3:4], off offset:2496
	global_load_dwordx2 v[9:10], v[3:4], off offset:3120
	;; [unrolled: 1-line block ×4, first 2 shown]
	global_load_dwordx2 v[15:16], v[3:4], off
	global_load_dwordx2 v[17:18], v[3:4], off offset:624
	global_load_dwordx2 v[19:20], v[3:4], off offset:1248
	;; [unrolled: 1-line block ×7, first 2 shown]
	v_lshlrev_b32_e32 v3, 3, v24
	s_movk_i32 s6, 0x4d
	v_add3_u32 v3, 0, v35, v3
	v_add_u32_e32 v4, 0x800, v3
	v_cmp_eq_u32_e32 vcc, s6, v24
	v_add_u32_e32 v5, 0xc00, v3
	v_add_u32_e32 v6, 0x1000, v3
	;; [unrolled: 1-line block ×3, first 2 shown]
	s_waitcnt vmcnt(10)
	ds_write2_b64 v4, v[7:8], v[9:10] offset0:56 offset1:134
	s_waitcnt vmcnt(6)
	ds_write2_b64 v3, v[15:16], v[17:18] offset1:78
	s_waitcnt vmcnt(4)
	ds_write2_b64 v3, v[19:20], v[21:22] offset0:156 offset1:234
	ds_write2_b64 v5, v[11:12], v[13:14] offset0:84 offset1:162
	s_waitcnt vmcnt(2)
	ds_write2_b64 v6, v[28:29], v[30:31] offset0:112 offset1:190
	s_waitcnt vmcnt(0)
	ds_write2_b64 v23, v[32:33], v[36:37] offset0:12 offset1:90
	s_and_saveexec_b64 s[6:7], vcc
	s_cbranch_execz .LBB0_11
; %bb.10:
	v_add_co_u32_e32 v4, vcc, 0x1000, v2
	v_addc_co_u32_e32 v5, vcc, 0, v0, vcc
	global_load_dwordx2 v[4:5], v[4:5], off offset:3392
	v_mov_b32_e32 v24, 0x4d
	s_waitcnt vmcnt(0)
	ds_write_b64 v3, v[4:5] offset:6872
.LBB0_11:
	s_or_b64 exec, exec, s[6:7]
.LBB0_12:
	s_or_b64 exec, exec, s[4:5]
	v_lshl_add_u32 v34, v1, 3, 0
	v_lshlrev_b32_e32 v5, 3, v24
	v_add_u32_e32 v36, v34, v5
	s_waitcnt lgkmcnt(0)
	s_barrier
	v_sub_u32_e32 v4, v34, v5
	ds_read_b32 v6, v36
	ds_read_b32 v7, v4 offset:7488
	s_add_u32 s6, s8, 0x1d30
	s_addc_u32 s7, s9, 0
	v_cmp_ne_u32_e32 vcc, 0, v24
                                        ; implicit-def: $vgpr2_vgpr3
	s_waitcnt lgkmcnt(0)
	v_add_f32_e32 v0, v7, v6
	v_sub_f32_e32 v1, v6, v7
	s_and_saveexec_b64 s[4:5], vcc
	s_xor_b64 s[4:5], exec, s[4:5]
	s_cbranch_execz .LBB0_14
; %bb.13:
	v_mov_b32_e32 v25, 0
	v_lshlrev_b64 v[0:1], 3, v[24:25]
	v_mov_b32_e32 v2, s7
	v_add_co_u32_e32 v0, vcc, s6, v0
	v_addc_co_u32_e32 v1, vcc, v2, v1, vcc
	global_load_dwordx2 v[2:3], v[0:1], off
	ds_read_b32 v0, v4 offset:7492
	ds_read_b32 v1, v36 offset:4
	v_add_f32_e32 v8, v7, v6
	v_sub_f32_e32 v9, v6, v7
	s_waitcnt lgkmcnt(0)
	v_add_f32_e32 v10, v0, v1
	v_sub_f32_e32 v0, v1, v0
	s_waitcnt vmcnt(0)
	v_fma_f32 v11, v9, v3, v8
	v_fma_f32 v1, v10, v3, v0
	v_fma_f32 v6, -v9, v3, v8
	v_fma_f32 v7, v10, v3, -v0
	v_fma_f32 v0, -v2, v10, v11
	v_fmac_f32_e32 v1, v9, v2
	v_fmac_f32_e32 v6, v2, v10
	;; [unrolled: 1-line block ×3, first 2 shown]
	v_mov_b32_e32 v2, v24
	ds_write_b64 v4, v[6:7] offset:7488
	v_mov_b32_e32 v3, v25
.LBB0_14:
	s_andn2_saveexec_b64 s[4:5], s[4:5]
	s_cbranch_execz .LBB0_16
; %bb.15:
	ds_read_b64 v[2:3], v34 offset:3744
	s_waitcnt lgkmcnt(0)
	v_add_f32_e32 v6, v2, v2
	v_mul_f32_e32 v7, -2.0, v3
	v_mov_b32_e32 v2, 0
	v_mov_b32_e32 v3, 0
	ds_write_b64 v34, v[6:7] offset:3744
.LBB0_16:
	s_or_b64 exec, exec, s[4:5]
	v_lshlrev_b64 v[2:3], 3, v[2:3]
	v_mov_b32_e32 v6, s7
	v_add_co_u32_e32 v2, vcc, s6, v2
	v_addc_co_u32_e32 v3, vcc, v6, v3, vcc
	global_load_dwordx2 v[6:7], v[2:3], off offset:624
	global_load_dwordx2 v[8:9], v[2:3], off offset:1248
	global_load_dwordx2 v[10:11], v[2:3], off offset:1872
	global_load_dwordx2 v[12:13], v[2:3], off offset:2496
	ds_write_b64 v36, v[0:1]
	ds_read_b64 v[0:1], v36 offset:624
	ds_read_b64 v[14:15], v4 offset:6864
	global_load_dwordx2 v[2:3], v[2:3], off offset:3120
	v_add_u32_e32 v37, 0x4e, v24
	v_add_u32_e32 v39, 0x9c, v24
	;; [unrolled: 1-line block ×3, first 2 shown]
	s_waitcnt lgkmcnt(0)
	v_add_f32_e32 v16, v0, v14
	v_add_f32_e32 v17, v15, v1
	v_sub_f32_e32 v18, v0, v14
	v_sub_f32_e32 v14, v1, v15
	v_add_u32_e32 v40, 0x138, v24
	v_add_u32_e32 v41, 0x186, v24
	v_and_b32_e32 v47, 1, v24
	s_movk_i32 s4, 0xfc
	s_waitcnt vmcnt(4)
	v_fma_f32 v19, v18, v7, v16
	v_fma_f32 v15, v17, v7, v14
	v_fma_f32 v0, -v18, v7, v16
	v_fma_f32 v1, v17, v7, -v14
	v_fma_f32 v14, -v6, v17, v19
	v_fmac_f32_e32 v15, v18, v6
	v_fmac_f32_e32 v0, v6, v17
	;; [unrolled: 1-line block ×3, first 2 shown]
	ds_write_b64 v36, v[14:15] offset:624
	ds_write_b64 v4, v[0:1] offset:6864
	ds_read_b64 v[0:1], v36 offset:1248
	ds_read_b64 v[6:7], v4 offset:6240
	s_waitcnt lgkmcnt(0)
	v_add_f32_e32 v14, v0, v6
	v_add_f32_e32 v15, v7, v1
	v_sub_f32_e32 v16, v0, v6
	v_sub_f32_e32 v6, v1, v7
	s_waitcnt vmcnt(3)
	v_fma_f32 v17, v16, v9, v14
	v_fma_f32 v7, v15, v9, v6
	v_fma_f32 v0, -v16, v9, v14
	v_fma_f32 v1, v15, v9, -v6
	v_fma_f32 v6, -v8, v15, v17
	v_fmac_f32_e32 v7, v16, v8
	v_fmac_f32_e32 v0, v8, v15
	;; [unrolled: 1-line block ×3, first 2 shown]
	ds_write_b64 v36, v[6:7] offset:1248
	ds_write_b64 v4, v[0:1] offset:6240
	ds_read_b64 v[0:1], v36 offset:1872
	ds_read_b64 v[6:7], v4 offset:5616
	v_add_u32_e32 v8, 0, v5
	v_add_u32_e32 v25, v8, v35
	v_lshlrev_b32_e32 v8, 4, v37
	v_add_u32_e32 v31, v25, v5
	s_waitcnt lgkmcnt(0)
	v_add_f32_e32 v9, v0, v6
	v_add_f32_e32 v14, v7, v1
	v_sub_f32_e32 v15, v0, v6
	v_sub_f32_e32 v0, v1, v7
	s_waitcnt vmcnt(2)
	v_fma_f32 v16, v15, v11, v9
	v_fma_f32 v1, v14, v11, v0
	v_fma_f32 v6, -v15, v11, v9
	v_fma_f32 v7, v14, v11, -v0
	v_fma_f32 v0, -v10, v14, v16
	v_fmac_f32_e32 v1, v15, v10
	v_fmac_f32_e32 v6, v10, v14
	;; [unrolled: 1-line block ×3, first 2 shown]
	ds_write_b64 v36, v[0:1] offset:1872
	ds_write_b64 v4, v[6:7] offset:5616
	ds_read_b64 v[0:1], v36 offset:2496
	ds_read_b64 v[6:7], v4 offset:4992
	v_add3_u32 v32, 0, v8, v35
	v_add_u32_e32 v23, 0x800, v25
	v_add_u32_e32 v22, 0x1000, v25
	;; [unrolled: 1-line block ×3, first 2 shown]
	s_waitcnt lgkmcnt(0)
	v_add_f32_e32 v9, v0, v6
	v_add_f32_e32 v10, v7, v1
	v_sub_f32_e32 v11, v0, v6
	v_sub_f32_e32 v0, v1, v7
	s_waitcnt vmcnt(1)
	v_fma_f32 v14, v11, v13, v9
	v_fma_f32 v1, v10, v13, v0
	v_fma_f32 v6, -v11, v13, v9
	v_fma_f32 v7, v10, v13, -v0
	v_fma_f32 v0, -v12, v10, v14
	v_fmac_f32_e32 v1, v11, v12
	v_fmac_f32_e32 v6, v12, v10
	;; [unrolled: 1-line block ×3, first 2 shown]
	ds_write_b64 v36, v[0:1] offset:2496
	ds_write_b64 v4, v[6:7] offset:4992
	ds_read_b64 v[0:1], v36 offset:3120
	ds_read_b64 v[6:7], v4 offset:4368
	v_add_u32_e32 v30, 0x1400, v25
	s_waitcnt lgkmcnt(0)
	v_add_f32_e32 v5, v0, v6
	v_add_f32_e32 v8, v7, v1
	v_sub_f32_e32 v9, v0, v6
	v_sub_f32_e32 v0, v1, v7
	s_waitcnt vmcnt(0)
	v_fma_f32 v7, v9, v3, v5
	v_fma_f32 v1, v8, v3, v0
	v_fma_f32 v5, -v9, v3, v5
	v_fma_f32 v6, v8, v3, -v0
	v_fma_f32 v0, -v2, v8, v7
	v_fmac_f32_e32 v1, v9, v2
	v_fmac_f32_e32 v5, v2, v8
	v_fmac_f32_e32 v6, v9, v2
	ds_write_b64 v36, v[0:1] offset:3120
	ds_write_b64 v4, v[5:6] offset:4368
	s_waitcnt lgkmcnt(0)
	s_barrier
	s_barrier
	ds_read2_b64 v[0:3], v23 offset0:134 offset1:212
	ds_read_b64 v[20:21], v36
	ds_read_b64 v[28:29], v25 offset:6864
	ds_read2_b64 v[4:7], v25 offset0:78 offset1:156
	ds_read2_b64 v[8:11], v22 offset0:34 offset1:112
	;; [unrolled: 1-line block ×4, first 2 shown]
	s_waitcnt lgkmcnt(5)
	v_sub_f32_e32 v2, v20, v2
	v_sub_f32_e32 v3, v21, v3
	s_waitcnt lgkmcnt(2)
	v_sub_f32_e32 v8, v4, v8
	v_sub_f32_e32 v9, v5, v9
	v_fma_f32 v20, v20, 2.0, -v2
	v_fma_f32 v21, v21, 2.0, -v3
	;; [unrolled: 1-line block ×3, first 2 shown]
	s_waitcnt lgkmcnt(0)
	s_barrier
	v_sub_f32_e32 v10, v6, v10
	v_fma_f32 v5, v5, 2.0, -v9
	ds_write2_b64 v31, v[20:21], v[2:3] offset1:1
	ds_write2_b64 v32, v[4:5], v[8:9] offset1:1
	v_sub_f32_e32 v11, v7, v11
	v_lshlrev_b32_e32 v4, 4, v39
	v_fma_f32 v2, v6, 2.0, -v10
	v_fma_f32 v3, v7, 2.0, -v11
	v_add3_u32 v4, 0, v4, v35
	ds_write2_b64 v4, v[2:3], v[10:11] offset1:1
	v_sub_f32_e32 v2, v12, v16
	v_sub_f32_e32 v3, v13, v17
	v_lshlrev_b32_e32 v6, 4, v38
	v_fma_f32 v4, v12, 2.0, -v2
	v_fma_f32 v5, v13, 2.0, -v3
	v_add3_u32 v6, 0, v6, v35
	ds_write2_b64 v6, v[4:5], v[2:3] offset1:1
	v_sub_f32_e32 v2, v14, v18
	;; [unrolled: 7-line block ×3, first 2 shown]
	v_sub_f32_e32 v3, v1, v29
	v_lshlrev_b32_e32 v4, 4, v41
	v_fma_f32 v0, v0, 2.0, -v2
	v_fma_f32 v1, v1, 2.0, -v3
	v_add3_u32 v4, 0, v4, v35
	ds_write2_b64 v4, v[0:1], v[2:3] offset1:1
	v_lshlrev_b32_e32 v0, 3, v47
	s_waitcnt lgkmcnt(0)
	s_barrier
	global_load_dwordx2 v[8:9], v0, s[8:9]
	ds_read2_b64 v[0:3], v22 offset0:34 offset1:112
	ds_read2_b64 v[4:7], v30 offset0:62 offset1:140
	;; [unrolled: 1-line block ×5, first 2 shown]
	ds_read_b64 v[10:11], v25 offset:6864
	ds_read_b64 v[32:33], v36
	s_waitcnt vmcnt(0) lgkmcnt(0)
	s_barrier
	v_mul_f32_e32 v12, v9, v1
	v_mul_f32_e32 v13, v9, v0
	;; [unrolled: 1-line block ×7, first 2 shown]
	v_fmac_f32_e32 v12, v8, v0
	v_fma_f32 v0, v8, v1, -v13
	v_fma_f32 v1, v8, v3, -v15
	;; [unrolled: 1-line block ×3, first 2 shown]
	v_fmac_f32_e32 v14, v8, v2
	v_fmac_f32_e32 v16, v8, v4
	v_fma_f32 v2, v8, v5, -v17
	v_sub_f32_e32 v17, v31, v3
	v_mul_f32_e32 v48, v9, v7
	v_mul_f32_e32 v50, v9, v11
	;; [unrolled: 1-line block ×5, first 2 shown]
	v_sub_f32_e32 v4, v18, v12
	v_sub_f32_e32 v12, v28, v16
	v_fma_f32 v15, v31, 2.0, -v17
	v_lshlrev_b32_e32 v31, 1, v24
	v_fmac_f32_e32 v48, v8, v6
	v_fmac_f32_e32 v52, v8, v45
	v_sub_f32_e32 v13, v29, v2
	v_fma_f32 v2, v28, 2.0, -v12
	v_fma_f32 v9, v8, v46, -v9
	v_and_or_b32 v28, v31, s4, v47
	v_fmac_f32_e32 v50, v8, v10
	v_fma_f32 v49, v8, v11, -v51
	v_sub_f32_e32 v16, v30, v48
	v_sub_f32_e32 v8, v32, v52
	;; [unrolled: 1-line block ×3, first 2 shown]
	v_lshlrev_b32_e32 v28, 3, v28
	v_sub_f32_e32 v5, v19, v0
	v_sub_f32_e32 v0, v20, v14
	v_fma_f32 v14, v30, 2.0, -v16
	v_fma_f32 v32, v32, 2.0, -v8
	;; [unrolled: 1-line block ×3, first 2 shown]
	v_add3_u32 v28, 0, v28, v35
	s_movk_i32 s4, 0x1fc
	v_lshlrev_b32_e32 v30, 1, v37
	ds_write2_b64 v28, v[32:33], v[8:9] offset1:2
	v_and_or_b32 v28, v30, s4, v47
	v_lshlrev_b32_e32 v28, 3, v28
	v_fma_f32 v10, v18, 2.0, -v4
	v_fma_f32 v11, v19, 2.0, -v5
	;; [unrolled: 1-line block ×3, first 2 shown]
	v_add3_u32 v28, 0, v28, v35
	s_movk_i32 s4, 0x3fc
	v_lshlrev_b32_e32 v29, 1, v39
	ds_write2_b64 v28, v[10:11], v[4:5] offset1:2
	v_and_or_b32 v28, v29, s4, v47
	v_sub_f32_e32 v1, v21, v1
	v_lshlrev_b32_e32 v28, 3, v28
	v_fma_f32 v6, v20, 2.0, -v0
	v_fma_f32 v7, v21, 2.0, -v1
	v_add3_u32 v28, 0, v28, v35
	v_sub_f32_e32 v20, v43, v50
	ds_write2_b64 v28, v[6:7], v[0:1] offset1:2
	v_lshlrev_b32_e32 v28, 1, v38
	v_fma_f32 v18, v43, 2.0, -v20
	v_and_or_b32 v43, v28, s4, v47
	v_lshlrev_b32_e32 v43, 3, v43
	v_add3_u32 v43, 0, v43, v35
	ds_write2_b64 v43, v[2:3], v[12:13] offset1:2
	v_lshlrev_b32_e32 v43, 1, v40
	v_and_or_b32 v43, v43, s4, v47
	v_lshlrev_b32_e32 v43, 3, v43
	v_add3_u32 v43, 0, v43, v35
	ds_write2_b64 v43, v[14:15], v[16:17] offset1:2
	s_movk_i32 s4, 0x7fc
	v_lshlrev_b32_e32 v43, 1, v41
	v_and_or_b32 v43, v43, s4, v47
	v_sub_f32_e32 v21, v44, v49
	v_lshlrev_b32_e32 v43, 3, v43
	s_movk_i32 s4, 0x48
	v_fma_f32 v19, v44, 2.0, -v21
	v_add3_u32 v43, 0, v43, v35
	v_cmp_gt_u32_e32 vcc, s4, v24
	ds_write2_b64 v43, v[18:19], v[20:21] offset1:2
	s_waitcnt lgkmcnt(0)
	s_barrier
	s_and_saveexec_b64 s[4:5], vcc
	s_cbranch_execz .LBB0_18
; %bb.17:
	ds_read_b64 v[32:33], v36
	ds_read2_b64 v[8:11], v25 offset0:72 offset1:144
	ds_read2_b64 v[4:7], v42 offset0:88 offset1:160
	;; [unrolled: 1-line block ×3, first 2 shown]
	v_add_u32_e32 v12, 0xc00, v25
	v_add_u32_e32 v20, 0x1800, v25
	ds_read2_b64 v[12:15], v12 offset0:120 offset1:192
	ds_read2_b64 v[16:19], v22 offset0:136 offset1:208
	;; [unrolled: 1-line block ×3, first 2 shown]
.LBB0_18:
	s_or_b64 exec, exec, s[4:5]
	s_waitcnt lgkmcnt(0)
	s_barrier
	s_and_saveexec_b64 s[4:5], vcc
	s_cbranch_execz .LBB0_20
; %bb.19:
	v_and_b32_e32 v42, 3, v24
	v_mul_u32_u24_e32 v43, 12, v42
	v_lshlrev_b32_e32 v67, 3, v43
	global_load_dwordx4 v[43:46], v67, s[8:9] offset:96
	global_load_dwordx4 v[47:50], v67, s[8:9] offset:16
	;; [unrolled: 1-line block ×6, first 2 shown]
	s_mov_b32 s7, 0x3df6dbef
	s_mov_b32 s6, 0xbf788fa5
	;; [unrolled: 1-line block ×6, first 2 shown]
	s_waitcnt vmcnt(5)
	v_mul_f32_e32 v67, v23, v46
	s_waitcnt vmcnt(4)
	v_mul_f32_e32 v69, v9, v48
	v_mul_f32_e32 v46, v22, v46
	v_mul_f32_e32 v68, v21, v44
	v_mul_f32_e32 v44, v20, v44
	v_mul_f32_e32 v48, v8, v48
	v_mul_f32_e32 v70, v11, v50
	s_waitcnt vmcnt(2)
	v_mul_f32_e32 v73, v5, v56
	v_mul_f32_e32 v56, v4, v56
	v_fmac_f32_e32 v67, v22, v45
	v_fmac_f32_e32 v69, v8, v47
	v_mul_f32_e32 v71, v19, v54
	v_mul_f32_e32 v72, v17, v52
	v_fma_f32 v22, v23, v45, -v46
	v_fmac_f32_e32 v68, v20, v43
	v_fma_f32 v23, v21, v43, -v44
	v_fma_f32 v43, v9, v47, -v48
	v_fmac_f32_e32 v70, v10, v49
	v_fma_f32 v47, v5, v55, -v56
	v_sub_f32_e32 v5, v69, v67
	v_mul_f32_e32 v50, v10, v50
	v_mul_f32_e32 v52, v16, v52
	;; [unrolled: 1-line block ×3, first 2 shown]
	s_waitcnt vmcnt(1)
	v_mul_f32_e32 v78, v3, v62
	v_fmac_f32_e32 v71, v18, v53
	v_fmac_f32_e32 v72, v16, v51
	;; [unrolled: 1-line block ×3, first 2 shown]
	v_sub_f32_e32 v4, v70, v68
	v_mul_f32_e32 v16, 0xbf7e222b, v5
	v_mul_f32_e32 v54, v18, v54
	;; [unrolled: 1-line block ×6, first 2 shown]
	v_fma_f32 v44, v11, v49, -v50
	v_fma_f32 v46, v17, v51, -v52
	v_fmac_f32_e32 v74, v6, v57
	v_fmac_f32_e32 v78, v2, v61
	v_add_f32_e32 v20, v43, v22
	v_sub_f32_e32 v2, v73, v71
	v_sub_f32_e32 v56, v43, v22
	v_mul_f32_e32 v17, 0xbe750f2a, v4
	v_mov_b32_e32 v6, v16
	s_waitcnt vmcnt(0)
	v_mul_f32_e32 v77, v13, v64
	v_mul_f32_e32 v64, v12, v64
	v_fma_f32 v45, v19, v53, -v54
	v_fma_f32 v48, v7, v57, -v58
	;; [unrolled: 1-line block ×4, first 2 shown]
	v_add_f32_e32 v21, v44, v23
	v_add_f32_e32 v3, v69, v67
	v_mul_f32_e32 v18, 0x3f6f5d39, v2
	v_mul_f32_e32 v58, 0xbf7e222b, v56
	v_mov_b32_e32 v7, v17
	v_fmac_f32_e32 v6, 0x3df6dbef, v20
	v_sub_f32_e32 v60, v44, v23
	v_mul_f32_e32 v76, v15, v66
	v_mul_f32_e32 v66, v14, v66
	v_fmac_f32_e32 v77, v12, v63
	v_fma_f32 v50, v13, v63, -v64
	v_fmac_f32_e32 v75, v0, v59
	v_add_f32_e32 v53, v47, v45
	v_mov_b32_e32 v8, v18
	v_fma_f32 v11, v3, s7, -v58
	v_fmac_f32_e32 v7, 0xbf788fa5, v21
	v_add_f32_e32 v6, v33, v6
	v_add_f32_e32 v59, v70, v68
	v_mul_f32_e32 v61, 0xbe750f2a, v60
	v_sub_f32_e32 v63, v47, v45
	v_fmac_f32_e32 v76, v14, v65
	v_fma_f32 v49, v15, v65, -v66
	v_sub_f32_e32 v1, v74, v72
	v_fmac_f32_e32 v8, 0xbeb58ec6, v53
	v_add_f32_e32 v11, v32, v11
	v_add_f32_e32 v6, v7, v6
	v_fma_f32 v7, v59, s6, -v61
	v_add_f32_e32 v62, v73, v71
	v_mul_f32_e32 v64, 0x3f6f5d39, v63
	v_sub_f32_e32 v66, v48, v46
	v_sub_f32_e32 v0, v75, v76
	v_mul_f32_e32 v19, 0x3eedf032, v1
	v_add_f32_e32 v6, v8, v6
	v_add_f32_e32 v7, v7, v11
	v_fma_f32 v8, v62, s10, -v64
	v_add_f32_e32 v65, v74, v72
	v_mul_f32_e32 v79, 0x3eedf032, v66
	v_sub_f32_e32 v81, v51, v49
	v_add_f32_e32 v54, v48, v46
	v_mul_f32_e32 v57, 0xbf52af12, v0
	v_mov_b32_e32 v9, v19
	v_add_f32_e32 v7, v8, v7
	v_fma_f32 v8, v65, s11, -v79
	v_add_f32_e32 v80, v75, v76
	v_mul_f32_e32 v82, 0xbf52af12, v81
	v_sub_f32_e32 v83, v78, v77
	v_add_f32_e32 v55, v51, v49
	v_mov_b32_e32 v10, v57
	v_fmac_f32_e32 v9, 0x3f62ad3f, v54
	v_add_f32_e32 v7, v8, v7
	v_fma_f32 v8, v80, s12, -v82
	v_mul_f32_e32 v84, 0xbf29c268, v83
	v_fmac_f32_e32 v10, 0x3f116cb1, v55
	v_add_f32_e32 v6, v9, v6
	v_add_f32_e32 v8, v8, v7
	;; [unrolled: 1-line block ×3, first 2 shown]
	v_mov_b32_e32 v7, v84
	v_sub_f32_e32 v87, v52, v50
	v_add_f32_e32 v6, v10, v6
	v_fmac_f32_e32 v7, 0xbf3f9e67, v85
	v_add_f32_e32 v86, v78, v77
	v_mul_f32_e32 v88, 0xbf29c268, v87
	v_add_f32_e32 v7, v7, v6
	v_fma_f32 v6, v86, s13, -v88
	v_mul_f32_e32 v12, 0xbf29c268, v5
	v_add_f32_e32 v6, v6, v8
	v_mov_b32_e32 v8, v12
	v_mul_f32_e32 v13, 0x3f7e222b, v4
	v_fmac_f32_e32 v8, 0xbf3f9e67, v20
	v_mov_b32_e32 v9, v13
	v_add_f32_e32 v8, v33, v8
	v_fmac_f32_e32 v9, 0x3df6dbef, v21
	v_mul_f32_e32 v14, 0xbf52af12, v2
	v_add_f32_e32 v8, v9, v8
	v_mov_b32_e32 v9, v14
	v_fmac_f32_e32 v9, 0x3f116cb1, v53
	v_mul_f32_e32 v15, 0x3e750f2a, v1
	v_add_f32_e32 v8, v9, v8
	v_mov_b32_e32 v9, v15
	;; [unrolled: 4-line block ×3, first 2 shown]
	v_fmac_f32_e32 v9, 0x3f62ad3f, v55
	v_mul_f32_e32 v90, 0xbf29c268, v56
	v_add_f32_e32 v8, v9, v8
	v_fma_f32 v9, v3, s13, -v90
	v_mul_f32_e32 v91, 0x3f7e222b, v60
	v_add_f32_e32 v9, v32, v9
	v_fma_f32 v10, v59, s7, -v91
	;; [unrolled: 3-line block ×5, first 2 shown]
	v_mul_f32_e32 v95, 0xbf6f5d39, v83
	v_add_f32_e32 v10, v10, v9
	v_mov_b32_e32 v9, v95
	v_fmac_f32_e32 v9, 0xbeb58ec6, v85
	v_mul_f32_e32 v96, 0xbf6f5d39, v87
	v_add_f32_e32 v9, v9, v8
	v_fma_f32 v8, v86, s10, -v96
	v_mul_f32_e32 v97, 0xbf788fa5, v20
	v_add_f32_e32 v8, v8, v10
	v_mov_b32_e32 v10, v97
	v_mul_f32_e32 v98, 0x3f62ad3f, v21
	v_fmac_f32_e32 v10, 0x3e750f2a, v5
	v_mov_b32_e32 v11, v98
	v_add_f32_e32 v10, v33, v10
	v_fmac_f32_e32 v11, 0xbeedf032, v4
	v_mul_f32_e32 v99, 0xbf3f9e67, v53
	v_fma_f32 v12, v20, s13, -v12
	v_add_f32_e32 v10, v11, v10
	v_mov_b32_e32 v11, v99
	v_add_f32_e32 v12, v33, v12
	v_fma_f32 v13, v21, s7, -v13
	v_fmac_f32_e32 v11, 0x3f29c268, v2
	v_mul_f32_e32 v100, 0x3f116cb1, v54
	v_add_f32_e32 v12, v13, v12
	v_fma_f32 v13, v53, s12, -v14
	v_add_f32_e32 v10, v11, v10
	v_mov_b32_e32 v11, v100
	v_add_f32_e32 v12, v13, v12
	v_fma_f32 v13, v54, s6, -v15
	v_fmac_f32_e32 v11, 0xbf52af12, v1
	v_mul_f32_e32 v101, 0xbeb58ec6, v55
	v_add_f32_e32 v12, v13, v12
	v_fma_f32 v13, v55, s11, -v89
	v_fmac_f32_e32 v90, 0xbf3f9e67, v3
	v_add_f32_e32 v10, v11, v10
	v_mov_b32_e32 v11, v101
	v_add_f32_e32 v12, v13, v12
	v_add_f32_e32 v13, v32, v90
	v_fmac_f32_e32 v91, 0x3df6dbef, v59
	v_fmac_f32_e32 v11, 0x3f6f5d39, v0
	v_mul_f32_e32 v102, 0xbe750f2a, v56
	v_add_f32_e32 v13, v91, v13
	v_fmac_f32_e32 v92, 0x3f116cb1, v62
	v_add_f32_e32 v10, v11, v10
	v_mov_b32_e32 v11, v102
	v_mul_f32_e32 v103, 0x3eedf032, v60
	v_add_f32_e32 v13, v92, v13
	v_fmac_f32_e32 v93, 0xbf788fa5, v65
	v_fmac_f32_e32 v11, 0xbf788fa5, v3
	v_mov_b32_e32 v104, v103
	v_add_f32_e32 v13, v93, v13
	v_fmac_f32_e32 v94, 0x3f62ad3f, v80
	v_add_f32_e32 v11, v32, v11
	v_fmac_f32_e32 v104, 0x3f62ad3f, v59
	v_add_f32_e32 v14, v94, v13
	v_fma_f32 v13, v85, s10, -v95
	v_fmac_f32_e32 v96, 0xbeb58ec6, v86
	v_mul_f32_e32 v89, 0xbeb58ec6, v20
	v_add_f32_e32 v11, v104, v11
	v_mul_f32_e32 v104, 0xbf29c268, v63
	v_add_f32_e32 v13, v13, v12
	v_add_f32_e32 v12, v96, v14
	v_mov_b32_e32 v14, v89
	v_mul_f32_e32 v90, 0xbf3f9e67, v21
	v_mov_b32_e32 v105, v104
	v_fmac_f32_e32 v14, 0x3f6f5d39, v5
	v_mov_b32_e32 v15, v90
	v_fmac_f32_e32 v105, 0xbf3f9e67, v62
	v_add_f32_e32 v14, v33, v14
	v_fmac_f32_e32 v15, 0xbf29c268, v4
	v_mul_f32_e32 v91, 0x3f62ad3f, v53
	v_fma_f32 v16, v20, s7, -v16
	v_add_f32_e32 v11, v105, v11
	v_mul_f32_e32 v105, 0x3f52af12, v66
	v_add_f32_e32 v14, v15, v14
	v_mov_b32_e32 v15, v91
	v_add_f32_e32 v16, v33, v16
	v_fma_f32 v17, v21, s6, -v17
	v_mov_b32_e32 v106, v105
	v_fmac_f32_e32 v15, 0xbeedf032, v2
	v_mul_f32_e32 v92, 0x3df6dbef, v54
	v_add_f32_e32 v16, v17, v16
	v_fma_f32 v17, v53, s10, -v18
	v_fmac_f32_e32 v106, 0x3f116cb1, v65
	v_add_f32_e32 v14, v15, v14
	v_mov_b32_e32 v15, v92
	v_add_f32_e32 v16, v17, v16
	v_fma_f32 v17, v54, s11, -v19
	v_add_f32_e32 v11, v106, v11
	v_mul_f32_e32 v106, 0xbf6f5d39, v81
	v_fmac_f32_e32 v15, 0x3f7e222b, v1
	v_mul_f32_e32 v93, 0xbf788fa5, v55
	v_add_f32_e32 v16, v17, v16
	v_fma_f32 v17, v55, s12, -v57
	v_fmac_f32_e32 v58, 0x3df6dbef, v3
	v_mov_b32_e32 v107, v106
	v_add_f32_e32 v14, v15, v14
	v_mov_b32_e32 v15, v93
	v_add_f32_e32 v16, v17, v16
	v_add_f32_e32 v17, v32, v58
	v_fmac_f32_e32 v61, 0xbf788fa5, v59
	v_fmac_f32_e32 v107, 0xbeb58ec6, v80
	v_mul_f32_e32 v108, 0x3df6dbef, v85
	v_fmac_f32_e32 v15, 0xbe750f2a, v0
	v_mul_f32_e32 v94, 0xbf6f5d39, v56
	v_add_f32_e32 v17, v61, v17
	v_fmac_f32_e32 v64, 0xbeb58ec6, v62
	v_add_f32_e32 v107, v107, v11
	v_mov_b32_e32 v11, v108
	v_add_f32_e32 v14, v15, v14
	v_mov_b32_e32 v15, v94
	v_mul_f32_e32 v95, 0x3f29c268, v60
	v_add_f32_e32 v17, v64, v17
	v_fmac_f32_e32 v79, 0x3f62ad3f, v65
	v_fmac_f32_e32 v11, 0xbf7e222b, v83
	v_mul_f32_e32 v109, 0x3f7e222b, v87
	v_fmac_f32_e32 v15, 0xbeb58ec6, v3
	v_mov_b32_e32 v96, v95
	v_add_f32_e32 v17, v79, v17
	v_fmac_f32_e32 v82, 0x3f116cb1, v80
	v_add_f32_e32 v11, v11, v10
	v_mov_b32_e32 v10, v109
	v_add_f32_e32 v15, v32, v15
	v_fmac_f32_e32 v96, 0xbf3f9e67, v59
	v_add_f32_e32 v18, v82, v17
	v_fma_f32 v17, v85, s13, -v84
	v_fmac_f32_e32 v88, 0xbf3f9e67, v86
	v_mul_f32_e32 v57, 0x3f116cb1, v20
	v_fmac_f32_e32 v10, 0x3df6dbef, v86
	v_add_f32_e32 v15, v96, v15
	v_mul_f32_e32 v96, 0x3eedf032, v63
	v_add_f32_e32 v17, v17, v16
	v_add_f32_e32 v16, v88, v18
	v_mov_b32_e32 v18, v57
	v_mul_f32_e32 v58, 0xbeb58ec6, v21
	v_add_f32_e32 v10, v10, v107
	v_mov_b32_e32 v107, v96
	v_fmac_f32_e32 v18, 0x3f52af12, v5
	v_mov_b32_e32 v19, v58
	v_fmac_f32_e32 v107, 0x3f62ad3f, v62
	v_add_f32_e32 v18, v33, v18
	v_fmac_f32_e32 v19, 0x3f6f5d39, v4
	v_mul_f32_e32 v61, 0xbf788fa5, v53
	v_add_f32_e32 v15, v107, v15
	v_mul_f32_e32 v107, 0xbf7e222b, v66
	v_add_f32_e32 v18, v19, v18
	v_mov_b32_e32 v19, v61
	v_mov_b32_e32 v110, v107
	v_fmac_f32_e32 v19, 0x3e750f2a, v2
	v_mul_f32_e32 v64, 0xbf3f9e67, v54
	v_fmac_f32_e32 v110, 0x3df6dbef, v65
	v_add_f32_e32 v18, v19, v18
	v_mov_b32_e32 v19, v64
	v_add_f32_e32 v15, v110, v15
	v_mul_f32_e32 v110, 0x3e750f2a, v81
	v_fmac_f32_e32 v19, 0xbf29c268, v1
	v_mul_f32_e32 v79, 0x3df6dbef, v55
	v_mov_b32_e32 v111, v110
	v_add_f32_e32 v18, v19, v18
	v_mov_b32_e32 v19, v79
	v_fmac_f32_e32 v111, 0xbf788fa5, v80
	v_mul_f32_e32 v112, 0x3f116cb1, v85
	v_fmac_f32_e32 v19, 0xbf7e222b, v0
	v_mul_f32_e32 v82, 0xbf52af12, v56
	v_add_f32_e32 v111, v111, v15
	v_mov_b32_e32 v15, v112
	v_add_f32_e32 v18, v19, v18
	v_mov_b32_e32 v19, v82
	v_mul_f32_e32 v84, 0xbf6f5d39, v60
	v_fmac_f32_e32 v15, 0xbf52af12, v83
	v_mul_f32_e32 v113, 0x3f52af12, v87
	v_fmac_f32_e32 v19, 0x3f116cb1, v3
	v_mov_b32_e32 v88, v84
	v_add_f32_e32 v15, v15, v14
	v_mov_b32_e32 v14, v113
	v_add_f32_e32 v19, v32, v19
	v_fmac_f32_e32 v88, 0xbeb58ec6, v59
	v_fmac_f32_e32 v14, 0x3f116cb1, v86
	v_add_f32_e32 v19, v88, v19
	v_mul_f32_e32 v88, 0xbe750f2a, v63
	v_add_f32_e32 v14, v14, v111
	v_mov_b32_e32 v111, v88
	v_fmac_f32_e32 v111, 0xbf788fa5, v62
	v_add_f32_e32 v19, v111, v19
	v_mul_f32_e32 v111, 0x3f29c268, v66
	v_mov_b32_e32 v114, v111
	v_fmac_f32_e32 v114, 0xbf3f9e67, v65
	v_add_f32_e32 v43, v33, v43
	v_add_f32_e32 v19, v114, v19
	v_mul_f32_e32 v114, 0x3f7e222b, v81
	v_add_f32_e32 v43, v43, v44
	v_mov_b32_e32 v115, v114
	v_add_f32_e32 v43, v43, v47
	v_fmac_f32_e32 v115, 0x3df6dbef, v80
	v_mul_f32_e32 v116, 0x3f62ad3f, v85
	v_add_f32_e32 v43, v43, v48
	v_add_f32_e32 v115, v115, v19
	v_mov_b32_e32 v19, v116
	v_add_f32_e32 v43, v43, v51
	v_fmac_f32_e32 v19, 0xbeedf032, v83
	v_mul_f32_e32 v117, 0x3eedf032, v87
	v_add_f32_e32 v43, v43, v52
	v_add_f32_e32 v19, v19, v18
	v_mov_b32_e32 v18, v117
	v_add_f32_e32 v43, v43, v50
	v_fmac_f32_e32 v18, 0x3f62ad3f, v86
	v_add_f32_e32 v43, v43, v49
	v_add_f32_e32 v18, v18, v115
	v_mul_f32_e32 v115, 0x3f62ad3f, v20
	v_add_f32_e32 v43, v43, v46
	v_mov_b32_e32 v20, v115
	v_mul_f32_e32 v118, 0x3f116cb1, v21
	v_add_f32_e32 v43, v43, v45
	v_fmac_f32_e32 v20, 0x3eedf032, v5
	v_mov_b32_e32 v21, v118
	v_add_f32_e32 v23, v43, v23
	v_add_f32_e32 v43, v32, v69
	;; [unrolled: 1-line block ×3, first 2 shown]
	v_fmac_f32_e32 v21, 0x3f52af12, v4
	v_mul_f32_e32 v53, 0x3df6dbef, v53
	v_add_f32_e32 v43, v43, v70
	v_add_f32_e32 v20, v21, v20
	v_mov_b32_e32 v21, v53
	v_add_f32_e32 v43, v43, v73
	v_fmac_f32_e32 v21, 0x3f7e222b, v2
	v_mul_f32_e32 v54, 0xbeb58ec6, v54
	v_add_f32_e32 v43, v43, v74
	v_add_f32_e32 v20, v21, v20
	v_mov_b32_e32 v21, v54
	v_add_f32_e32 v43, v43, v75
	;; [unrolled: 6-line block ×3, first 2 shown]
	v_fmac_f32_e32 v21, 0x3f29c268, v0
	v_mul_f32_e32 v56, 0xbeedf032, v56
	v_add_f32_e32 v43, v43, v76
	v_add_f32_e32 v20, v21, v20
	v_mov_b32_e32 v21, v56
	v_mul_f32_e32 v60, 0xbf52af12, v60
	v_add_f32_e32 v43, v43, v72
	v_fmac_f32_e32 v21, 0x3f62ad3f, v3
	v_mov_b32_e32 v119, v60
	v_add_f32_e32 v43, v43, v71
	v_add_f32_e32 v21, v32, v21
	v_fmac_f32_e32 v119, 0x3f116cb1, v59
	v_mul_f32_e32 v63, 0xbf7e222b, v63
	v_add_f32_e32 v43, v43, v68
	v_fmac_f32_e32 v97, 0xbe750f2a, v5
	v_add_f32_e32 v21, v119, v21
	v_mov_b32_e32 v119, v63
	v_add_f32_e32 v23, v23, v22
	v_add_f32_e32 v22, v43, v67
	;; [unrolled: 1-line block ×3, first 2 shown]
	v_fmac_f32_e32 v98, 0x3eedf032, v4
	v_fma_f32 v44, v3, s6, -v102
	v_fmac_f32_e32 v119, 0x3df6dbef, v62
	v_mul_f32_e32 v66, 0xbf6f5d39, v66
	v_add_f32_e32 v43, v98, v43
	v_fmac_f32_e32 v99, 0xbf29c268, v2
	v_add_f32_e32 v44, v32, v44
	v_fma_f32 v45, v59, s11, -v103
	v_fmac_f32_e32 v115, 0xbeedf032, v5
	v_add_f32_e32 v21, v119, v21
	v_mov_b32_e32 v119, v66
	v_add_f32_e32 v43, v99, v43
	v_fmac_f32_e32 v100, 0x3f52af12, v1
	v_add_f32_e32 v44, v45, v44
	v_fma_f32 v45, v62, s13, -v104
	v_fmac_f32_e32 v90, 0x3f29c268, v4
	v_fmac_f32_e32 v58, 0xbf6f5d39, v4
	;; [unrolled: 1-line block ×3, first 2 shown]
	v_add_f32_e32 v4, v33, v115
	v_fmac_f32_e32 v119, 0xbeb58ec6, v65
	v_mul_f32_e32 v81, 0xbf29c268, v81
	v_add_f32_e32 v43, v100, v43
	v_fmac_f32_e32 v101, 0xbf6f5d39, v0
	v_add_f32_e32 v44, v45, v44
	v_fma_f32 v45, v65, s12, -v105
	v_add_f32_e32 v4, v118, v4
	v_fmac_f32_e32 v53, 0xbf7e222b, v2
	v_add_f32_e32 v21, v119, v21
	v_mov_b32_e32 v119, v81
	v_add_f32_e32 v43, v101, v43
	v_add_f32_e32 v44, v45, v44
	v_fma_f32 v45, v80, s10, -v106
	v_fmac_f32_e32 v108, 0x3f7e222b, v83
	v_fmac_f32_e32 v91, 0x3eedf032, v2
	v_fmac_f32_e32 v61, 0xbe750f2a, v2
	v_add_f32_e32 v2, v53, v4
	v_fmac_f32_e32 v54, 0xbf6f5d39, v1
	v_fmac_f32_e32 v119, 0xbf3f9e67, v80
	v_mul_f32_e32 v85, 0xbf788fa5, v85
	v_add_f32_e32 v45, v45, v44
	v_add_f32_e32 v44, v108, v43
	v_fma_f32 v43, v86, s7, -v109
	v_fmac_f32_e32 v89, 0xbf6f5d39, v5
	v_fmac_f32_e32 v92, 0xbf7e222b, v1
	;; [unrolled: 1-line block ×3, first 2 shown]
	v_add_f32_e32 v1, v54, v2
	v_fmac_f32_e32 v55, 0xbf29c268, v0
	v_add_f32_e32 v119, v119, v21
	v_mov_b32_e32 v21, v85
	v_add_f32_e32 v43, v43, v45
	v_add_f32_e32 v45, v33, v89
	v_fmac_f32_e32 v93, 0x3e750f2a, v0
	v_fma_f32 v46, v3, s10, -v94
	v_fmac_f32_e32 v79, 0x3f7e222b, v0
	v_add_f32_e32 v0, v55, v1
	v_fmac_f32_e32 v85, 0xbe750f2a, v83
	v_add_f32_e32 v45, v90, v45
	v_add_f32_e32 v46, v32, v46
	v_fma_f32 v47, v59, s13, -v95
	v_add_f32_e32 v1, v85, v0
	v_fma_f32 v0, v3, s11, -v56
	v_add_f32_e32 v45, v91, v45
	v_add_f32_e32 v46, v47, v46
	v_fma_f32 v47, v62, s11, -v96
	v_add_f32_e32 v0, v32, v0
	v_fma_f32 v2, v59, s12, -v60
	;; [unrolled: 5-line block ×3, first 2 shown]
	v_add_f32_e32 v45, v93, v45
	v_add_f32_e32 v46, v47, v46
	v_fma_f32 v47, v80, s6, -v110
	v_fmac_f32_e32 v112, 0x3f52af12, v83
	v_add_f32_e32 v0, v2, v0
	v_fma_f32 v2, v65, s10, -v66
	v_mul_f32_e32 v87, 0xbe750f2a, v87
	v_add_f32_e32 v47, v47, v46
	v_add_f32_e32 v46, v112, v45
	v_fma_f32 v45, v86, s12, -v113
	v_fmac_f32_e32 v57, 0xbf52af12, v5
	v_add_f32_e32 v0, v2, v0
	v_fma_f32 v2, v80, s13, -v81
	v_add_f32_e32 v45, v45, v47
	v_add_f32_e32 v47, v33, v57
	v_fma_f32 v48, v3, s12, -v82
	v_add_f32_e32 v0, v2, v0
	v_fma_f32 v2, v86, s6, -v87
	v_add_f32_e32 v47, v58, v47
	v_add_f32_e32 v48, v32, v48
	v_fma_f32 v49, v59, s10, -v84
	v_add_f32_e32 v0, v2, v0
	v_lshrrev_b32_e32 v2, 2, v24
	v_fmac_f32_e32 v21, 0x3e750f2a, v83
	v_add_f32_e32 v47, v61, v47
	v_add_f32_e32 v48, v49, v48
	v_fma_f32 v49, v62, s6, -v88
	v_mul_u32_u24_e32 v2, 52, v2
	v_add_f32_e32 v21, v21, v20
	v_mov_b32_e32 v20, v87
	v_add_f32_e32 v47, v64, v47
	v_add_f32_e32 v48, v49, v48
	v_fma_f32 v49, v65, s13, -v111
	v_or_b32_e32 v2, v2, v42
	v_fmac_f32_e32 v20, 0xbf788fa5, v86
	v_add_f32_e32 v47, v79, v47
	v_add_f32_e32 v48, v49, v48
	v_fma_f32 v49, v80, s7, -v114
	v_fmac_f32_e32 v116, 0x3eedf032, v83
	v_lshlrev_b32_e32 v2, 3, v2
	v_add_f32_e32 v20, v20, v119
	v_add_f32_e32 v49, v49, v48
	;; [unrolled: 1-line block ×3, first 2 shown]
	v_fma_f32 v47, v86, s11, -v117
	v_add3_u32 v2, 0, v2, v35
	v_add_f32_e32 v47, v47, v49
	ds_write2_b64 v2, v[22:23], v[20:21] offset1:4
	ds_write2_b64 v2, v[18:19], v[16:17] offset0:8 offset1:12
	ds_write2_b64 v2, v[14:15], v[12:13] offset0:16 offset1:20
	;; [unrolled: 1-line block ×5, first 2 shown]
	ds_write_b64 v2, v[0:1] offset:384
.LBB0_20:
	s_or_b64 exec, exec, s[4:5]
	s_movk_i32 s4, 0x4f
	v_mul_lo_u16_sdwa v4, v37, s4 dst_sel:DWORD dst_unused:UNUSED_PAD src0_sel:BYTE_0 src1_sel:DWORD
	v_lshrrev_b16_e32 v54, 12, v4
	v_subrev_u32_e32 v0, 52, v24
	v_cmp_gt_u32_e32 vcc, 52, v24
	v_mul_lo_u16_e32 v4, 52, v54
	v_mul_lo_u16_sdwa v56, v39, s4 dst_sel:DWORD dst_unused:UNUSED_PAD src0_sel:BYTE_0 src1_sel:DWORD
	v_cndmask_b32_e32 v0, v0, v24, vcc
	v_mov_b32_e32 v1, 0
	v_sub_u16_e32 v4, v37, v4
	v_mov_b32_e32 v58, 3
	v_lshrrev_b16_e32 v59, 12, v56
	s_movk_i32 s4, 0x4ec5
	v_lshlrev_b64 v[2:3], 3, v[0:1]
	v_lshlrev_b32_sdwa v55, v58, v4 dst_sel:DWORD dst_unused:UNUSED_PAD src0_sel:DWORD src1_sel:BYTE_0
	v_mul_lo_u16_e32 v4, 52, v59
	v_mul_u32_u24_sdwa v61, v38, s4 dst_sel:DWORD dst_unused:UNUSED_PAD src0_sel:WORD_0 src1_sel:DWORD
	v_sub_u16_e32 v4, v39, v4
	v_lshrrev_b32_e32 v62, 20, v61
	v_mov_b32_e32 v57, s9
	v_add_co_u32_e32 v2, vcc, s8, v2
	v_lshlrev_b32_sdwa v60, v58, v4 dst_sel:DWORD dst_unused:UNUSED_PAD src0_sel:DWORD src1_sel:BYTE_0
	v_mul_lo_u16_e32 v4, 52, v62
	v_addc_co_u32_e32 v3, vcc, v57, v3, vcc
	v_sub_u16_e32 v4, v38, v4
	s_waitcnt lgkmcnt(0)
	s_barrier
	v_lshlrev_b32_e32 v63, 3, v4
	global_load_dwordx2 v[32:33], v[2:3], off offset:400
	global_load_dwordx2 v[42:43], v55, s[8:9] offset:400
	global_load_dwordx2 v[44:45], v60, s[8:9] offset:400
	;; [unrolled: 1-line block ×3, first 2 shown]
	v_mul_u32_u24_sdwa v2, v40, s4 dst_sel:DWORD dst_unused:UNUSED_PAD src0_sel:WORD_0 src1_sel:DWORD
	v_lshrrev_b32_e32 v64, 20, v2
	v_mul_lo_u16_e32 v2, 52, v64
	v_sub_u16_e32 v2, v40, v2
	v_lshlrev_b32_e32 v65, 3, v2
	v_mul_u32_u24_sdwa v2, v41, s4 dst_sel:DWORD dst_unused:UNUSED_PAD src0_sel:WORD_0 src1_sel:DWORD
	v_lshrrev_b32_e32 v66, 20, v2
	v_mul_lo_u16_e32 v2, 52, v66
	v_sub_u16_e32 v2, v41, v2
	global_load_dwordx2 v[40:41], v65, s[8:9] offset:400
	v_lshlrev_b32_e32 v67, 3, v2
	global_load_dwordx2 v[48:49], v67, s[8:9] offset:400
	v_add_u32_e32 v3, 0x800, v25
	ds_read2_b64 v[4:7], v25 offset0:78 offset1:156
	v_add_u32_e32 v2, 0x1000, v25
	v_add_u32_e32 v68, 0x400, v25
	;; [unrolled: 1-line block ×3, first 2 shown]
	ds_read2_b64 v[8:11], v3 offset0:134 offset1:212
	ds_read_b64 v[50:51], v36
	ds_read_b64 v[52:53], v25 offset:6864
	ds_read2_b64 v[12:15], v2 offset0:34 offset1:112
	ds_read2_b64 v[16:19], v68 offset0:106 offset1:184
	;; [unrolled: 1-line block ×3, first 2 shown]
	v_cmp_lt_u32_e32 vcc, 51, v24
	v_lshlrev_b32_e32 v0, 3, v0
	s_movk_i32 s4, 0x340
	s_waitcnt vmcnt(0) lgkmcnt(0)
	s_barrier
	v_mul_f32_e32 v70, v33, v11
	v_mul_f32_e32 v33, v33, v10
	v_fmac_f32_e32 v70, v32, v10
	v_fma_f32 v11, v32, v11, -v33
	v_mul_f32_e32 v32, v43, v13
	v_mul_f32_e32 v10, v43, v12
	;; [unrolled: 1-line block ×3, first 2 shown]
	v_fmac_f32_e32 v32, v42, v12
	v_fma_f32 v42, v42, v13, -v10
	v_mul_f32_e32 v33, v45, v15
	v_fma_f32 v43, v44, v15, -v43
	v_sub_f32_e32 v15, v5, v42
	v_mov_b32_e32 v42, 0x340
	v_cndmask_b32_e32 v42, 0, v42, vcc
	v_sub_f32_e32 v10, v50, v70
	v_sub_f32_e32 v11, v51, v11
	v_add_u32_e32 v42, 0, v42
	v_fma_f32 v12, v50, 2.0, -v10
	v_fma_f32 v13, v51, 2.0, -v11
	v_add3_u32 v0, v42, v0, v35
	v_fmac_f32_e32 v33, v44, v14
	v_sub_f32_e32 v14, v4, v32
	ds_write2_b64 v0, v[12:13], v[10:11] offset1:52
	v_mad_u32_u24 v0, v54, s4, 0
	v_mul_f32_e32 v45, v47, v21
	v_mul_f32_e32 v47, v47, v20
	v_fma_f32 v4, v4, 2.0, -v14
	v_fma_f32 v5, v5, 2.0, -v15
	v_add3_u32 v0, v0, v55, v35
	v_fmac_f32_e32 v45, v46, v20
	v_fma_f32 v44, v46, v21, -v47
	v_sub_f32_e32 v20, v6, v33
	v_sub_f32_e32 v21, v7, v43
	ds_write2_b64 v0, v[4:5], v[14:15] offset1:52
	v_mad_u32_u24 v0, v59, s4, 0
	v_mul_f32_e32 v71, v41, v23
	v_mul_f32_e32 v41, v41, v22
	v_fma_f32 v6, v6, 2.0, -v20
	v_fma_f32 v7, v7, 2.0, -v21
	v_add3_u32 v0, v0, v60, v35
	v_fmac_f32_e32 v71, v40, v22
	v_fma_f32 v40, v40, v23, -v41
	v_sub_f32_e32 v22, v16, v45
	v_sub_f32_e32 v23, v17, v44
	ds_write2_b64 v0, v[6:7], v[20:21] offset1:52
	v_mad_u32_u24 v0, v62, s4, 0
	v_fma_f32 v16, v16, 2.0, -v22
	v_fma_f32 v17, v17, 2.0, -v23
	v_add3_u32 v0, v0, v63, v35
	v_sub_f32_e32 v32, v18, v71
	v_sub_f32_e32 v33, v19, v40
	ds_write2_b64 v0, v[16:17], v[22:23] offset1:52
	v_mad_u32_u24 v0, v64, s4, 0
	v_fma_f32 v18, v18, 2.0, -v32
	v_fma_f32 v19, v19, 2.0, -v33
	v_add3_u32 v0, v0, v65, v35
	ds_write2_b64 v0, v[18:19], v[32:33] offset1:52
	v_mov_b32_e32 v32, v1
	v_mul_f32_e32 v72, v53, v49
	v_mul_f32_e32 v49, v52, v49
	v_lshlrev_b64 v[4:5], 3, v[31:32]
	v_fmac_f32_e32 v72, v52, v48
	v_fma_f32 v41, v53, v48, -v49
	v_sub_f32_e32 v40, v8, v72
	v_sub_f32_e32 v41, v9, v41
	v_mad_u32_u24 v0, v66, s4, 0
	v_add_co_u32_e32 v31, vcc, s8, v4
	v_fma_f32 v8, v8, 2.0, -v40
	v_fma_f32 v9, v9, 2.0, -v41
	v_add3_u32 v0, v0, v67, v35
	v_addc_co_u32_e32 v32, vcc, v57, v5, vcc
	ds_write2_b64 v0, v[8:9], v[40:41] offset1:52
	v_subrev_u32_e32 v0, 26, v24
	v_cmp_gt_u32_e32 vcc, 26, v24
	v_cndmask_b32_e32 v33, v0, v37, vcc
	v_lshlrev_b32_e32 v0, 1, v33
	v_lshlrev_b64 v[8:9], 3, v[0:1]
	s_waitcnt lgkmcnt(0)
	s_barrier
	global_load_dwordx4 v[4:7], v[31:32], off offset:816
	v_add_co_u32_e32 v8, vcc, s8, v8
	v_lshrrev_b16_e32 v0, 13, v56
	v_addc_co_u32_e32 v9, vcc, v57, v9, vcc
	global_load_dwordx4 v[8:11], v[8:9], off offset:816
	v_mul_lo_u16_e32 v12, 0x68, v0
	v_sub_u16_e32 v59, v39, v12
	v_mov_b32_e32 v12, 4
	v_lshrrev_b32_e32 v16, 21, v61
	v_lshlrev_b32_sdwa v12, v12, v59 dst_sel:DWORD dst_unused:UNUSED_PAD src0_sel:DWORD src1_sel:BYTE_0
	v_mul_lo_u16_e32 v16, 0x68, v16
	global_load_dwordx4 v[12:15], v12, s[8:9] offset:816
	v_sub_u16_e32 v60, v38, v16
	v_lshlrev_b32_e32 v16, 4, v60
	global_load_dwordx4 v[16:19], v16, s[8:9] offset:816
	ds_read2_b64 v[20:23], v68 offset0:106 offset1:184
	ds_read2_b64 v[37:40], v2 offset0:34 offset1:112
	;; [unrolled: 1-line block ×5, first 2 shown]
	ds_read_b64 v[53:54], v36
	ds_read_b64 v[55:56], v25 offset:6864
	s_waitcnt vmcnt(0) lgkmcnt(0)
	s_barrier
	v_cmp_lt_u32_e32 vcc, 25, v24
	s_movk_i32 s4, 0x9c0
	v_mad_u32_u24 v0, v0, s4, 0
	v_mul_f32_e32 v61, v5, v23
	v_mul_f32_e32 v5, v5, v22
	v_fmac_f32_e32 v61, v4, v22
	v_fma_f32 v22, v4, v23, -v5
	v_mul_f32_e32 v4, v7, v39
	v_mul_f32_e32 v23, v7, v40
	v_fma_f32 v7, v6, v40, -v4
	v_mul_f32_e32 v4, v9, v45
	v_fmac_f32_e32 v23, v6, v39
	v_mul_f32_e32 v39, v9, v46
	v_fma_f32 v40, v8, v46, -v4
	v_mul_f32_e32 v4, v11, v49
	v_fmac_f32_e32 v39, v8, v45
	v_mul_f32_e32 v45, v11, v50
	v_fma_f32 v11, v10, v50, -v4
	v_mul_f32_e32 v46, v13, v48
	v_mul_f32_e32 v4, v13, v47
	v_fmac_f32_e32 v46, v12, v47
	v_fma_f32 v47, v12, v48, -v4
	v_mul_f32_e32 v4, v51, v15
	v_fmac_f32_e32 v45, v10, v49
	v_fma_f32 v49, v52, v14, -v4
	v_mul_f32_e32 v50, v38, v17
	v_mul_f32_e32 v4, v37, v17
	;; [unrolled: 1-line block ×3, first 2 shown]
	v_fmac_f32_e32 v50, v37, v16
	v_fma_f32 v37, v38, v16, -v4
	v_mul_f32_e32 v4, v55, v19
	v_add_f32_e32 v5, v61, v23
	v_fmac_f32_e32 v48, v51, v14
	v_fma_f32 v51, v56, v18, -v4
	v_add_f32_e32 v4, v53, v61
	v_fma_f32 v53, -0.5, v5, v53
	v_add_f32_e32 v9, v39, v45
	v_sub_f32_e32 v5, v22, v7
	v_mov_b32_e32 v6, v53
	v_fma_f32 v10, -0.5, v9, v41
	v_fmac_f32_e32 v6, 0xbf5db3d7, v5
	v_fmac_f32_e32 v53, 0x3f5db3d7, v5
	v_add_f32_e32 v5, v54, v22
	v_sub_f32_e32 v9, v40, v11
	v_mov_b32_e32 v12, v10
	v_add_f32_e32 v5, v5, v7
	v_add_f32_e32 v7, v22, v7
	v_fmac_f32_e32 v12, 0xbf5db3d7, v9
	v_fmac_f32_e32 v10, 0x3f5db3d7, v9
	v_add_f32_e32 v9, v42, v40
	v_fmac_f32_e32 v54, -0.5, v7
	v_add_f32_e32 v9, v9, v11
	v_add_f32_e32 v11, v40, v11
	v_sub_f32_e32 v8, v61, v23
	v_mov_b32_e32 v7, v54
	v_fma_f32 v11, -0.5, v11, v42
	v_add_f32_e32 v4, v4, v23
	v_fmac_f32_e32 v7, 0x3f5db3d7, v8
	v_sub_f32_e32 v14, v39, v45
	v_mov_b32_e32 v13, v11
	v_add_f32_e32 v15, v46, v48
	v_fmac_f32_e32 v54, 0xbf5db3d7, v8
	v_fmac_f32_e32 v13, 0x3f5db3d7, v14
	;; [unrolled: 1-line block ×3, first 2 shown]
	v_add_f32_e32 v14, v43, v46
	v_fma_f32 v43, -0.5, v15, v43
	ds_write2_b64 v25, v[4:5], v[6:7] offset1:104
	ds_write_b64 v25, v[53:54] offset:1664
	v_mov_b32_e32 v4, 0x9c0
	v_mul_f32_e32 v38, v56, v19
	v_sub_f32_e32 v15, v47, v49
	v_mov_b32_e32 v16, v43
	v_add_f32_e32 v17, v47, v49
	v_cndmask_b32_e32 v4, 0, v4, vcc
	v_fmac_f32_e32 v38, v55, v18
	v_add_f32_e32 v8, v41, v39
	v_fmac_f32_e32 v16, 0xbf5db3d7, v15
	v_fmac_f32_e32 v43, 0x3f5db3d7, v15
	v_add_f32_e32 v15, v44, v47
	v_fmac_f32_e32 v44, -0.5, v17
	v_add_u32_e32 v4, 0, v4
	v_lshlrev_b32_e32 v5, 3, v33
	v_add_f32_e32 v8, v8, v45
	v_sub_f32_e32 v18, v46, v48
	v_mov_b32_e32 v17, v44
	v_add_f32_e32 v19, v50, v38
	v_add3_u32 v4, v4, v5, v35
	v_fmac_f32_e32 v17, 0x3f5db3d7, v18
	v_fmac_f32_e32 v44, 0xbf5db3d7, v18
	v_add_f32_e32 v18, v20, v50
	v_fma_f32 v20, -0.5, v19, v20
	ds_write2_b64 v4, v[8:9], v[12:13] offset1:104
	ds_write_b64 v4, v[10:11] offset:1664
	v_lshlrev_b32_sdwa v4, v58, v59 dst_sel:DWORD dst_unused:UNUSED_PAD src0_sel:DWORD src1_sel:BYTE_0
	v_add_f32_e32 v14, v14, v48
	v_add_f32_e32 v15, v15, v49
	v_sub_f32_e32 v19, v37, v51
	v_mov_b32_e32 v22, v20
	v_add_f32_e32 v23, v37, v51
	v_add3_u32 v0, v0, v4, v35
	v_fmac_f32_e32 v22, 0xbf5db3d7, v19
	v_fmac_f32_e32 v20, 0x3f5db3d7, v19
	v_add_f32_e32 v19, v21, v37
	v_fmac_f32_e32 v21, -0.5, v23
	ds_write2_b64 v0, v[14:15], v[16:17] offset1:104
	ds_write_b64 v0, v[43:44] offset:1664
	v_lshlrev_b32_e32 v0, 3, v60
	v_sub_f32_e32 v37, v50, v38
	v_mov_b32_e32 v23, v21
	v_add3_u32 v0, 0, v0, v35
	v_add_f32_e32 v18, v18, v38
	v_add_f32_e32 v19, v19, v51
	v_fmac_f32_e32 v23, 0x3f5db3d7, v37
	v_add_u32_e32 v4, 0x1000, v0
	v_fmac_f32_e32 v21, 0xbf5db3d7, v37
	ds_write2_b64 v4, v[18:19], v[22:23] offset0:112 offset1:216
	ds_write_b64 v0, v[20:21] offset:6656
	s_waitcnt lgkmcnt(0)
	s_barrier
	global_load_dwordx4 v[4:7], v[31:32], off offset:2480
	v_mov_b32_e32 v31, v1
	v_lshlrev_b64 v[8:9], 3, v[30:31]
	v_mov_b32_e32 v30, v1
	v_add_co_u32_e32 v8, vcc, s8, v8
	v_lshlrev_b64 v[12:13], 3, v[29:30]
	v_addc_co_u32_e32 v9, vcc, v57, v9, vcc
	v_mov_b32_e32 v29, v1
	global_load_dwordx4 v[8:11], v[8:9], off offset:2480
	v_add_co_u32_e32 v12, vcc, s8, v12
	v_lshlrev_b64 v[16:17], 3, v[28:29]
	v_addc_co_u32_e32 v13, vcc, v57, v13, vcc
	global_load_dwordx4 v[12:15], v[12:13], off offset:2480
	v_add_co_u32_e32 v16, vcc, s8, v16
	v_addc_co_u32_e32 v17, vcc, v57, v17, vcc
	global_load_dwordx4 v[16:19], v[16:17], off offset:2480
	ds_read2_b64 v[20:23], v68 offset0:106 offset1:184
	ds_read2_b64 v[28:31], v2 offset0:34 offset1:112
	ds_read2_b64 v[37:40], v25 offset0:78 offset1:156
	ds_read2_b64 v[41:44], v3 offset0:134 offset1:212
	ds_read2_b64 v[45:48], v69 offset0:62 offset1:140
	ds_read_b64 v[32:33], v36
	ds_read_b64 v[35:36], v25 offset:6864
	s_waitcnt vmcnt(0) lgkmcnt(0)
	s_barrier
	v_mul_f32_e32 v0, v5, v23
	v_mul_f32_e32 v5, v5, v22
	v_fmac_f32_e32 v0, v4, v22
	v_fma_f32 v22, v4, v23, -v5
	v_mul_f32_e32 v4, v7, v30
	v_mul_f32_e32 v23, v7, v31
	v_fma_f32 v7, v6, v31, -v4
	v_fmac_f32_e32 v23, v6, v30
	v_add_f32_e32 v5, v0, v23
	v_mul_f32_e32 v4, v9, v41
	v_mul_f32_e32 v30, v9, v42
	v_fma_f32 v31, v8, v42, -v4
	v_mul_f32_e32 v4, v11, v45
	v_fmac_f32_e32 v30, v8, v41
	v_mul_f32_e32 v41, v11, v46
	v_fma_f32 v11, v10, v46, -v4
	v_mul_f32_e32 v42, v13, v44
	v_mul_f32_e32 v4, v13, v43
	v_fmac_f32_e32 v42, v12, v43
	v_fma_f32 v43, v12, v44, -v4
	v_mul_f32_e32 v4, v47, v15
	v_fmac_f32_e32 v41, v10, v45
	v_fma_f32 v45, v48, v14, -v4
	v_mul_f32_e32 v46, v29, v17
	v_mul_f32_e32 v4, v28, v17
	v_fmac_f32_e32 v46, v28, v16
	v_fma_f32 v28, v29, v16, -v4
	v_mul_f32_e32 v29, v36, v19
	v_mul_f32_e32 v4, v35, v19
	v_fmac_f32_e32 v29, v35, v18
	v_fma_f32 v35, v36, v18, -v4
	v_add_f32_e32 v4, v32, v0
	v_fma_f32 v32, -0.5, v5, v32
	v_sub_f32_e32 v5, v22, v7
	v_mov_b32_e32 v6, v32
	v_fmac_f32_e32 v6, 0xbf5db3d7, v5
	v_fmac_f32_e32 v32, 0x3f5db3d7, v5
	v_add_f32_e32 v5, v33, v22
	v_add_f32_e32 v5, v5, v7
	;; [unrolled: 1-line block ×3, first 2 shown]
	v_fmac_f32_e32 v33, -0.5, v7
	v_sub_f32_e32 v0, v0, v23
	v_mov_b32_e32 v7, v33
	v_fmac_f32_e32 v7, 0x3f5db3d7, v0
	v_fmac_f32_e32 v33, 0xbf5db3d7, v0
	v_add_f32_e32 v0, v37, v30
	v_add_f32_e32 v8, v0, v41
	;; [unrolled: 1-line block ×3, first 2 shown]
	v_fma_f32 v10, -0.5, v0, v37
	v_sub_f32_e32 v0, v31, v11
	v_mov_b32_e32 v12, v10
	v_fmac_f32_e32 v12, 0xbf5db3d7, v0
	v_fmac_f32_e32 v10, 0x3f5db3d7, v0
	v_add_f32_e32 v0, v38, v31
	v_add_f32_e32 v9, v0, v11
	;; [unrolled: 1-line block ×3, first 2 shown]
	v_fma_f32 v11, -0.5, v0, v38
	v_mul_f32_e32 v44, v48, v15
	v_sub_f32_e32 v0, v30, v41
	v_mov_b32_e32 v13, v11
	v_fmac_f32_e32 v44, v47, v14
	v_fmac_f32_e32 v13, 0x3f5db3d7, v0
	;; [unrolled: 1-line block ×3, first 2 shown]
	v_add_f32_e32 v0, v39, v42
	v_add_f32_e32 v14, v0, v44
	;; [unrolled: 1-line block ×3, first 2 shown]
	v_fma_f32 v39, -0.5, v0, v39
	v_sub_f32_e32 v0, v43, v45
	v_mov_b32_e32 v16, v39
	v_fmac_f32_e32 v16, 0xbf5db3d7, v0
	v_fmac_f32_e32 v39, 0x3f5db3d7, v0
	v_add_f32_e32 v0, v40, v43
	v_add_f32_e32 v15, v0, v45
	;; [unrolled: 1-line block ×3, first 2 shown]
	v_fmac_f32_e32 v40, -0.5, v0
	v_sub_f32_e32 v0, v42, v44
	v_mov_b32_e32 v17, v40
	v_fmac_f32_e32 v17, 0x3f5db3d7, v0
	v_fmac_f32_e32 v40, 0xbf5db3d7, v0
	v_add_f32_e32 v0, v20, v46
	v_add_f32_e32 v18, v0, v29
	;; [unrolled: 1-line block ×3, first 2 shown]
	v_fma_f32 v20, -0.5, v0, v20
	v_sub_f32_e32 v0, v28, v35
	v_mov_b32_e32 v22, v20
	v_fmac_f32_e32 v22, 0xbf5db3d7, v0
	v_fmac_f32_e32 v20, 0x3f5db3d7, v0
	v_add_f32_e32 v0, v21, v28
	v_add_f32_e32 v19, v0, v35
	;; [unrolled: 1-line block ×3, first 2 shown]
	v_fmac_f32_e32 v21, -0.5, v0
	v_add_f32_e32 v4, v4, v23
	v_sub_f32_e32 v0, v46, v29
	v_mov_b32_e32 v23, v21
	v_fmac_f32_e32 v23, 0x3f5db3d7, v0
	v_fmac_f32_e32 v21, 0xbf5db3d7, v0
	v_add_u32_e32 v0, 0x1800, v25
	ds_write_b64 v25, v[6:7] offset:2496
	ds_write_b64 v25, v[32:33] offset:4992
	ds_write2_b64 v25, v[4:5], v[8:9] offset1:78
	ds_write2_b64 v3, v[12:13], v[16:17] offset0:134 offset1:212
	ds_write2_b64 v25, v[14:15], v[18:19] offset0:156 offset1:234
	ds_write2_b64 v2, v[22:23], v[10:11] offset0:34 offset1:190
	ds_write2_b64 v0, v[39:40], v[20:21] offset0:12 offset1:90
	s_waitcnt lgkmcnt(0)
	s_barrier
	s_and_saveexec_b64 s[4:5], s[0:1]
	s_cbranch_execz .LBB0_22
; %bb.21:
	v_lshl_add_u32 v8, v24, 3, v34
	v_mov_b32_e32 v25, v1
	ds_read2_b64 v[2:5], v8 offset1:78
	v_mov_b32_e32 v0, s3
	v_add_co_u32_e32 v9, vcc, s2, v26
	v_lshlrev_b64 v[6:7], 3, v[24:25]
	v_addc_co_u32_e32 v10, vcc, v0, v27, vcc
	v_add_co_u32_e32 v6, vcc, v9, v6
	v_addc_co_u32_e32 v7, vcc, v10, v7, vcc
	v_add_u32_e32 v0, 0x4e, v24
	s_waitcnt lgkmcnt(0)
	global_store_dwordx2 v[6:7], v[2:3], off
	v_lshlrev_b64 v[2:3], 3, v[0:1]
	v_add_u32_e32 v0, 0x9c, v24
	v_add_co_u32_e32 v2, vcc, v9, v2
	v_addc_co_u32_e32 v3, vcc, v10, v3, vcc
	global_store_dwordx2 v[2:3], v[4:5], off
	ds_read2_b64 v[2:5], v8 offset0:156 offset1:234
	v_lshlrev_b64 v[6:7], 3, v[0:1]
	v_add_u32_e32 v0, 0xea, v24
	v_add_co_u32_e32 v6, vcc, v9, v6
	v_addc_co_u32_e32 v7, vcc, v10, v7, vcc
	s_waitcnt lgkmcnt(0)
	global_store_dwordx2 v[6:7], v[2:3], off
	v_lshlrev_b64 v[2:3], 3, v[0:1]
	v_add_u32_e32 v0, 0x138, v24
	v_add_co_u32_e32 v2, vcc, v9, v2
	v_addc_co_u32_e32 v3, vcc, v10, v3, vcc
	global_store_dwordx2 v[2:3], v[4:5], off
	v_add_u32_e32 v2, 0x800, v8
	ds_read2_b64 v[2:5], v2 offset0:56 offset1:134
	v_lshlrev_b64 v[6:7], 3, v[0:1]
	v_add_u32_e32 v0, 0x186, v24
	v_add_co_u32_e32 v6, vcc, v9, v6
	v_addc_co_u32_e32 v7, vcc, v10, v7, vcc
	s_waitcnt lgkmcnt(0)
	global_store_dwordx2 v[6:7], v[2:3], off
	v_lshlrev_b64 v[2:3], 3, v[0:1]
	v_add_u32_e32 v0, 0x1d4, v24
	v_add_co_u32_e32 v2, vcc, v9, v2
	v_addc_co_u32_e32 v3, vcc, v10, v3, vcc
	global_store_dwordx2 v[2:3], v[4:5], off
	v_add_u32_e32 v2, 0xc00, v8
	;; [unrolled: 13-line block ×4, first 2 shown]
	v_lshlrev_b64 v[6:7], 3, v[0:1]
	ds_read2_b64 v[2:5], v2 offset0:12 offset1:90
	v_add_u32_e32 v0, 0x35a, v24
	v_add_co_u32_e32 v6, vcc, v9, v6
	v_lshlrev_b64 v[0:1], 3, v[0:1]
	v_addc_co_u32_e32 v7, vcc, v10, v7, vcc
	v_add_co_u32_e32 v0, vcc, v9, v0
	v_addc_co_u32_e32 v1, vcc, v10, v1, vcc
	s_waitcnt lgkmcnt(0)
	global_store_dwordx2 v[6:7], v[2:3], off
	global_store_dwordx2 v[0:1], v[4:5], off
.LBB0_22:
	s_endpgm
	.section	.rodata,"a",@progbits
	.p2align	6, 0x0
	.amdhsa_kernel fft_rtc_back_len936_factors_2_2_13_2_3_3_wgs_234_tpt_78_halfLds_sp_ip_CI_unitstride_sbrr_C2R_dirReg
		.amdhsa_group_segment_fixed_size 0
		.amdhsa_private_segment_fixed_size 0
		.amdhsa_kernarg_size 88
		.amdhsa_user_sgpr_count 6
		.amdhsa_user_sgpr_private_segment_buffer 1
		.amdhsa_user_sgpr_dispatch_ptr 0
		.amdhsa_user_sgpr_queue_ptr 0
		.amdhsa_user_sgpr_kernarg_segment_ptr 1
		.amdhsa_user_sgpr_dispatch_id 0
		.amdhsa_user_sgpr_flat_scratch_init 0
		.amdhsa_user_sgpr_private_segment_size 0
		.amdhsa_uses_dynamic_stack 0
		.amdhsa_system_sgpr_private_segment_wavefront_offset 0
		.amdhsa_system_sgpr_workgroup_id_x 1
		.amdhsa_system_sgpr_workgroup_id_y 0
		.amdhsa_system_sgpr_workgroup_id_z 0
		.amdhsa_system_sgpr_workgroup_info 0
		.amdhsa_system_vgpr_workitem_id 0
		.amdhsa_next_free_vgpr 120
		.amdhsa_next_free_sgpr 22
		.amdhsa_reserve_vcc 1
		.amdhsa_reserve_flat_scratch 0
		.amdhsa_float_round_mode_32 0
		.amdhsa_float_round_mode_16_64 0
		.amdhsa_float_denorm_mode_32 3
		.amdhsa_float_denorm_mode_16_64 3
		.amdhsa_dx10_clamp 1
		.amdhsa_ieee_mode 1
		.amdhsa_fp16_overflow 0
		.amdhsa_exception_fp_ieee_invalid_op 0
		.amdhsa_exception_fp_denorm_src 0
		.amdhsa_exception_fp_ieee_div_zero 0
		.amdhsa_exception_fp_ieee_overflow 0
		.amdhsa_exception_fp_ieee_underflow 0
		.amdhsa_exception_fp_ieee_inexact 0
		.amdhsa_exception_int_div_zero 0
	.end_amdhsa_kernel
	.text
.Lfunc_end0:
	.size	fft_rtc_back_len936_factors_2_2_13_2_3_3_wgs_234_tpt_78_halfLds_sp_ip_CI_unitstride_sbrr_C2R_dirReg, .Lfunc_end0-fft_rtc_back_len936_factors_2_2_13_2_3_3_wgs_234_tpt_78_halfLds_sp_ip_CI_unitstride_sbrr_C2R_dirReg
                                        ; -- End function
	.section	.AMDGPU.csdata,"",@progbits
; Kernel info:
; codeLenInByte = 9524
; NumSgprs: 26
; NumVgprs: 120
; ScratchSize: 0
; MemoryBound: 0
; FloatMode: 240
; IeeeMode: 1
; LDSByteSize: 0 bytes/workgroup (compile time only)
; SGPRBlocks: 3
; VGPRBlocks: 29
; NumSGPRsForWavesPerEU: 26
; NumVGPRsForWavesPerEU: 120
; Occupancy: 2
; WaveLimiterHint : 1
; COMPUTE_PGM_RSRC2:SCRATCH_EN: 0
; COMPUTE_PGM_RSRC2:USER_SGPR: 6
; COMPUTE_PGM_RSRC2:TRAP_HANDLER: 0
; COMPUTE_PGM_RSRC2:TGID_X_EN: 1
; COMPUTE_PGM_RSRC2:TGID_Y_EN: 0
; COMPUTE_PGM_RSRC2:TGID_Z_EN: 0
; COMPUTE_PGM_RSRC2:TIDIG_COMP_CNT: 0
	.type	__hip_cuid_148762bcc1ea1ac7,@object ; @__hip_cuid_148762bcc1ea1ac7
	.section	.bss,"aw",@nobits
	.globl	__hip_cuid_148762bcc1ea1ac7
__hip_cuid_148762bcc1ea1ac7:
	.byte	0                               ; 0x0
	.size	__hip_cuid_148762bcc1ea1ac7, 1

	.ident	"AMD clang version 19.0.0git (https://github.com/RadeonOpenCompute/llvm-project roc-6.4.0 25133 c7fe45cf4b819c5991fe208aaa96edf142730f1d)"
	.section	".note.GNU-stack","",@progbits
	.addrsig
	.addrsig_sym __hip_cuid_148762bcc1ea1ac7
	.amdgpu_metadata
---
amdhsa.kernels:
  - .args:
      - .actual_access:  read_only
        .address_space:  global
        .offset:         0
        .size:           8
        .value_kind:     global_buffer
      - .offset:         8
        .size:           8
        .value_kind:     by_value
      - .actual_access:  read_only
        .address_space:  global
        .offset:         16
        .size:           8
        .value_kind:     global_buffer
      - .actual_access:  read_only
        .address_space:  global
        .offset:         24
        .size:           8
        .value_kind:     global_buffer
      - .offset:         32
        .size:           8
        .value_kind:     by_value
      - .actual_access:  read_only
        .address_space:  global
        .offset:         40
        .size:           8
        .value_kind:     global_buffer
      - .actual_access:  read_only
        .address_space:  global
        .offset:         48
        .size:           8
        .value_kind:     global_buffer
      - .offset:         56
        .size:           4
        .value_kind:     by_value
      - .actual_access:  read_only
        .address_space:  global
        .offset:         64
        .size:           8
        .value_kind:     global_buffer
      - .actual_access:  read_only
        .address_space:  global
        .offset:         72
        .size:           8
        .value_kind:     global_buffer
      - .address_space:  global
        .offset:         80
        .size:           8
        .value_kind:     global_buffer
    .group_segment_fixed_size: 0
    .kernarg_segment_align: 8
    .kernarg_segment_size: 88
    .language:       OpenCL C
    .language_version:
      - 2
      - 0
    .max_flat_workgroup_size: 234
    .name:           fft_rtc_back_len936_factors_2_2_13_2_3_3_wgs_234_tpt_78_halfLds_sp_ip_CI_unitstride_sbrr_C2R_dirReg
    .private_segment_fixed_size: 0
    .sgpr_count:     26
    .sgpr_spill_count: 0
    .symbol:         fft_rtc_back_len936_factors_2_2_13_2_3_3_wgs_234_tpt_78_halfLds_sp_ip_CI_unitstride_sbrr_C2R_dirReg.kd
    .uniform_work_group_size: 1
    .uses_dynamic_stack: false
    .vgpr_count:     120
    .vgpr_spill_count: 0
    .wavefront_size: 64
amdhsa.target:   amdgcn-amd-amdhsa--gfx906
amdhsa.version:
  - 1
  - 2
...

	.end_amdgpu_metadata
